;; amdgpu-corpus repo=ROCm/rocFFT kind=compiled arch=gfx1030 opt=O3
	.text
	.amdgcn_target "amdgcn-amd-amdhsa--gfx1030"
	.amdhsa_code_object_version 6
	.protected	fft_rtc_fwd_len440_factors_11_8_5_wgs_55_tpt_55_half_op_CI_CI_unitstride_sbrr_dirReg ; -- Begin function fft_rtc_fwd_len440_factors_11_8_5_wgs_55_tpt_55_half_op_CI_CI_unitstride_sbrr_dirReg
	.globl	fft_rtc_fwd_len440_factors_11_8_5_wgs_55_tpt_55_half_op_CI_CI_unitstride_sbrr_dirReg
	.p2align	8
	.type	fft_rtc_fwd_len440_factors_11_8_5_wgs_55_tpt_55_half_op_CI_CI_unitstride_sbrr_dirReg,@function
fft_rtc_fwd_len440_factors_11_8_5_wgs_55_tpt_55_half_op_CI_CI_unitstride_sbrr_dirReg: ; @fft_rtc_fwd_len440_factors_11_8_5_wgs_55_tpt_55_half_op_CI_CI_unitstride_sbrr_dirReg
; %bb.0:
	s_clause 0x2
	s_load_dwordx4 s[12:15], s[4:5], 0x0
	s_load_dwordx4 s[8:11], s[4:5], 0x58
	;; [unrolled: 1-line block ×3, first 2 shown]
	v_mul_u32_u24_e32 v1, 0x4a8, v0
	v_mov_b32_e32 v8, 0
	v_mov_b32_e32 v6, 0
	;; [unrolled: 1-line block ×3, first 2 shown]
	v_add_nc_u32_sdwa v10, s6, v1 dst_sel:DWORD dst_unused:UNUSED_PAD src0_sel:DWORD src1_sel:WORD_1
	v_mov_b32_e32 v11, v8
	s_waitcnt lgkmcnt(0)
	v_cmp_lt_u64_e64 s0, s[14:15], 2
	s_and_b32 vcc_lo, exec_lo, s0
	s_cbranch_vccnz .LBB0_8
; %bb.1:
	s_load_dwordx2 s[0:1], s[4:5], 0x10
	v_mov_b32_e32 v6, 0
	v_mov_b32_e32 v7, 0
	s_add_u32 s2, s18, 8
	s_addc_u32 s3, s19, 0
	v_mov_b32_e32 v1, v6
	s_add_u32 s6, s16, 8
	v_mov_b32_e32 v2, v7
	s_addc_u32 s7, s17, 0
	s_mov_b64 s[22:23], 1
	s_waitcnt lgkmcnt(0)
	s_add_u32 s20, s0, 8
	s_addc_u32 s21, s1, 0
.LBB0_2:                                ; =>This Inner Loop Header: Depth=1
	s_load_dwordx2 s[24:25], s[20:21], 0x0
                                        ; implicit-def: $vgpr3_vgpr4
	s_mov_b32 s0, exec_lo
	s_waitcnt lgkmcnt(0)
	v_or_b32_e32 v9, s25, v11
	v_cmpx_ne_u64_e32 0, v[8:9]
	s_xor_b32 s1, exec_lo, s0
	s_cbranch_execz .LBB0_4
; %bb.3:                                ;   in Loop: Header=BB0_2 Depth=1
	v_cvt_f32_u32_e32 v3, s24
	v_cvt_f32_u32_e32 v4, s25
	s_sub_u32 s0, 0, s24
	s_subb_u32 s26, 0, s25
	v_fmac_f32_e32 v3, 0x4f800000, v4
	v_rcp_f32_e32 v3, v3
	v_mul_f32_e32 v3, 0x5f7ffffc, v3
	v_mul_f32_e32 v4, 0x2f800000, v3
	v_trunc_f32_e32 v4, v4
	v_fmac_f32_e32 v3, 0xcf800000, v4
	v_cvt_u32_f32_e32 v4, v4
	v_cvt_u32_f32_e32 v3, v3
	v_mul_lo_u32 v5, s0, v4
	v_mul_hi_u32 v9, s0, v3
	v_mul_lo_u32 v12, s26, v3
	v_add_nc_u32_e32 v5, v9, v5
	v_mul_lo_u32 v9, s0, v3
	v_add_nc_u32_e32 v5, v5, v12
	v_mul_hi_u32 v12, v3, v9
	v_mul_lo_u32 v13, v3, v5
	v_mul_hi_u32 v14, v3, v5
	v_mul_hi_u32 v15, v4, v9
	v_mul_lo_u32 v9, v4, v9
	v_mul_hi_u32 v16, v4, v5
	v_mul_lo_u32 v5, v4, v5
	v_add_co_u32 v12, vcc_lo, v12, v13
	v_add_co_ci_u32_e32 v13, vcc_lo, 0, v14, vcc_lo
	v_add_co_u32 v9, vcc_lo, v12, v9
	v_add_co_ci_u32_e32 v9, vcc_lo, v13, v15, vcc_lo
	v_add_co_ci_u32_e32 v12, vcc_lo, 0, v16, vcc_lo
	v_add_co_u32 v5, vcc_lo, v9, v5
	v_add_co_ci_u32_e32 v9, vcc_lo, 0, v12, vcc_lo
	v_add_co_u32 v3, vcc_lo, v3, v5
	v_add_co_ci_u32_e32 v4, vcc_lo, v4, v9, vcc_lo
	v_mul_hi_u32 v5, s0, v3
	v_mul_lo_u32 v12, s26, v3
	v_mul_lo_u32 v9, s0, v4
	v_add_nc_u32_e32 v5, v5, v9
	v_mul_lo_u32 v9, s0, v3
	v_add_nc_u32_e32 v5, v5, v12
	v_mul_hi_u32 v12, v3, v9
	v_mul_lo_u32 v13, v3, v5
	v_mul_hi_u32 v14, v3, v5
	v_mul_hi_u32 v15, v4, v9
	v_mul_lo_u32 v9, v4, v9
	v_mul_hi_u32 v16, v4, v5
	v_mul_lo_u32 v5, v4, v5
	v_add_co_u32 v12, vcc_lo, v12, v13
	v_add_co_ci_u32_e32 v13, vcc_lo, 0, v14, vcc_lo
	v_add_co_u32 v9, vcc_lo, v12, v9
	v_add_co_ci_u32_e32 v9, vcc_lo, v13, v15, vcc_lo
	v_add_co_ci_u32_e32 v12, vcc_lo, 0, v16, vcc_lo
	v_add_co_u32 v5, vcc_lo, v9, v5
	v_add_co_ci_u32_e32 v9, vcc_lo, 0, v12, vcc_lo
	v_add_co_u32 v5, vcc_lo, v3, v5
	v_add_co_ci_u32_e32 v9, vcc_lo, v4, v9, vcc_lo
	v_mul_hi_u32 v16, v10, v5
	v_mad_u64_u32 v[12:13], null, v11, v5, 0
	v_mad_u64_u32 v[3:4], null, v10, v9, 0
	;; [unrolled: 1-line block ×3, first 2 shown]
	v_add_co_u32 v3, vcc_lo, v16, v3
	v_add_co_ci_u32_e32 v4, vcc_lo, 0, v4, vcc_lo
	v_add_co_u32 v3, vcc_lo, v3, v12
	v_add_co_ci_u32_e32 v3, vcc_lo, v4, v13, vcc_lo
	v_add_co_ci_u32_e32 v4, vcc_lo, 0, v15, vcc_lo
	v_add_co_u32 v5, vcc_lo, v3, v14
	v_add_co_ci_u32_e32 v9, vcc_lo, 0, v4, vcc_lo
	v_mul_lo_u32 v12, s25, v5
	v_mad_u64_u32 v[3:4], null, s24, v5, 0
	v_mul_lo_u32 v13, s24, v9
	v_sub_co_u32 v3, vcc_lo, v10, v3
	v_add3_u32 v4, v4, v13, v12
	v_sub_nc_u32_e32 v12, v11, v4
	v_subrev_co_ci_u32_e64 v12, s0, s25, v12, vcc_lo
	v_add_co_u32 v13, s0, v5, 2
	v_add_co_ci_u32_e64 v14, s0, 0, v9, s0
	v_sub_co_u32 v15, s0, v3, s24
	v_sub_co_ci_u32_e32 v4, vcc_lo, v11, v4, vcc_lo
	v_subrev_co_ci_u32_e64 v12, s0, 0, v12, s0
	v_cmp_le_u32_e32 vcc_lo, s24, v15
	v_cmp_eq_u32_e64 s0, s25, v4
	v_cndmask_b32_e64 v15, 0, -1, vcc_lo
	v_cmp_le_u32_e32 vcc_lo, s25, v12
	v_cndmask_b32_e64 v16, 0, -1, vcc_lo
	v_cmp_le_u32_e32 vcc_lo, s24, v3
	;; [unrolled: 2-line block ×3, first 2 shown]
	v_cndmask_b32_e64 v17, 0, -1, vcc_lo
	v_cmp_eq_u32_e32 vcc_lo, s25, v12
	v_cndmask_b32_e64 v3, v17, v3, s0
	v_cndmask_b32_e32 v12, v16, v15, vcc_lo
	v_add_co_u32 v15, vcc_lo, v5, 1
	v_add_co_ci_u32_e32 v16, vcc_lo, 0, v9, vcc_lo
	v_cmp_ne_u32_e32 vcc_lo, 0, v12
	v_cndmask_b32_e32 v4, v16, v14, vcc_lo
	v_cndmask_b32_e32 v12, v15, v13, vcc_lo
	v_cmp_ne_u32_e32 vcc_lo, 0, v3
	v_cndmask_b32_e32 v4, v9, v4, vcc_lo
	v_cndmask_b32_e32 v3, v5, v12, vcc_lo
.LBB0_4:                                ;   in Loop: Header=BB0_2 Depth=1
	s_andn2_saveexec_b32 s0, s1
	s_cbranch_execz .LBB0_6
; %bb.5:                                ;   in Loop: Header=BB0_2 Depth=1
	v_cvt_f32_u32_e32 v3, s24
	s_sub_i32 s1, 0, s24
	v_rcp_iflag_f32_e32 v3, v3
	v_mul_f32_e32 v3, 0x4f7ffffe, v3
	v_cvt_u32_f32_e32 v3, v3
	v_mul_lo_u32 v4, s1, v3
	v_mul_hi_u32 v4, v3, v4
	v_add_nc_u32_e32 v3, v3, v4
	v_mul_hi_u32 v3, v10, v3
	v_mul_lo_u32 v4, v3, s24
	v_add_nc_u32_e32 v5, 1, v3
	v_sub_nc_u32_e32 v4, v10, v4
	v_subrev_nc_u32_e32 v9, s24, v4
	v_cmp_le_u32_e32 vcc_lo, s24, v4
	v_cndmask_b32_e32 v4, v4, v9, vcc_lo
	v_cndmask_b32_e32 v3, v3, v5, vcc_lo
	v_cmp_le_u32_e32 vcc_lo, s24, v4
	v_add_nc_u32_e32 v5, 1, v3
	v_mov_b32_e32 v4, v8
	v_cndmask_b32_e32 v3, v3, v5, vcc_lo
.LBB0_6:                                ;   in Loop: Header=BB0_2 Depth=1
	s_or_b32 exec_lo, exec_lo, s0
	v_mul_lo_u32 v5, v4, s24
	v_mul_lo_u32 v9, v3, s25
	s_load_dwordx2 s[0:1], s[6:7], 0x0
	v_mad_u64_u32 v[12:13], null, v3, s24, 0
	s_load_dwordx2 s[24:25], s[2:3], 0x0
	s_add_u32 s22, s22, 1
	s_addc_u32 s23, s23, 0
	s_add_u32 s2, s2, 8
	s_addc_u32 s3, s3, 0
	s_add_u32 s6, s6, 8
	v_add3_u32 v5, v13, v9, v5
	v_sub_co_u32 v9, vcc_lo, v10, v12
	s_addc_u32 s7, s7, 0
	s_add_u32 s20, s20, 8
	v_sub_co_ci_u32_e32 v5, vcc_lo, v11, v5, vcc_lo
	s_addc_u32 s21, s21, 0
	s_waitcnt lgkmcnt(0)
	v_mul_lo_u32 v10, s0, v5
	v_mul_lo_u32 v11, s1, v9
	v_mad_u64_u32 v[6:7], null, s0, v9, v[6:7]
	v_mul_lo_u32 v5, s24, v5
	v_mul_lo_u32 v12, s25, v9
	v_mad_u64_u32 v[1:2], null, s24, v9, v[1:2]
	v_cmp_ge_u64_e64 s0, s[22:23], s[14:15]
	v_add3_u32 v7, v11, v7, v10
	v_add3_u32 v2, v12, v2, v5
	s_and_b32 vcc_lo, exec_lo, s0
	s_cbranch_vccnz .LBB0_9
; %bb.7:                                ;   in Loop: Header=BB0_2 Depth=1
	v_mov_b32_e32 v11, v4
	v_mov_b32_e32 v10, v3
	s_branch .LBB0_2
.LBB0_8:
	v_mov_b32_e32 v1, v6
	v_mov_b32_e32 v3, v10
	;; [unrolled: 1-line block ×4, first 2 shown]
.LBB0_9:
	s_load_dwordx2 s[0:1], s[4:5], 0x28
	v_mul_hi_u32 v8, 0x4a7904b, v0
	s_lshl_b64 s[4:5], s[14:15], 3
                                        ; implicit-def: $vgpr5
	s_add_u32 s2, s18, s4
	s_addc_u32 s3, s19, s5
	s_waitcnt lgkmcnt(0)
	v_cmp_gt_u64_e32 vcc_lo, s[0:1], v[3:4]
	v_cmp_le_u64_e64 s0, s[0:1], v[3:4]
	s_and_saveexec_b32 s1, s0
	s_xor_b32 s0, exec_lo, s1
; %bb.10:
	v_mul_u32_u24_e32 v5, 55, v8
                                        ; implicit-def: $vgpr8
                                        ; implicit-def: $vgpr6_vgpr7
	v_sub_nc_u32_e32 v5, v0, v5
                                        ; implicit-def: $vgpr0
; %bb.11:
	s_andn2_saveexec_b32 s1, s0
	s_cbranch_execz .LBB0_13
; %bb.12:
	s_add_u32 s4, s16, s4
	s_addc_u32 s5, s17, s5
	v_lshlrev_b64 v[6:7], 2, v[6:7]
	s_load_dwordx2 s[4:5], s[4:5], 0x0
	s_waitcnt lgkmcnt(0)
	v_mul_lo_u32 v5, s5, v3
	v_mul_lo_u32 v11, s4, v4
	v_mad_u64_u32 v[9:10], null, s4, v3, 0
	v_add3_u32 v10, v10, v11, v5
	v_mul_u32_u24_e32 v5, 55, v8
	v_lshlrev_b64 v[8:9], 2, v[9:10]
	v_sub_nc_u32_e32 v5, v0, v5
	v_add_co_u32 v0, s0, s8, v8
	v_add_co_ci_u32_e64 v8, s0, s9, v9, s0
	v_lshlrev_b32_e32 v9, 2, v5
	v_add_co_u32 v0, s0, v0, v6
	v_add_co_ci_u32_e64 v7, s0, v8, v7, s0
	v_add_co_u32 v6, s0, v0, v9
	v_add_co_ci_u32_e64 v7, s0, 0, v7, s0
	s_clause 0x7
	global_load_dword v0, v[6:7], off
	global_load_dword v8, v[6:7], off offset:220
	global_load_dword v10, v[6:7], off offset:440
	;; [unrolled: 1-line block ×7, first 2 shown]
	v_add_nc_u32_e32 v7, 0, v9
	v_add_nc_u32_e32 v9, 0x200, v7
	;; [unrolled: 1-line block ×3, first 2 shown]
	s_waitcnt vmcnt(6)
	ds_write2_b32 v7, v0, v8 offset1:55
	s_waitcnt vmcnt(4)
	ds_write2_b32 v7, v10, v11 offset0:110 offset1:165
	s_waitcnt vmcnt(2)
	ds_write2_b32 v9, v12, v13 offset0:92 offset1:147
	;; [unrolled: 2-line block ×3, first 2 shown]
.LBB0_13:
	s_or_b32 exec_lo, exec_lo, s1
	v_lshl_add_u32 v0, v5, 2, 0
	s_waitcnt lgkmcnt(0)
	s_barrier
	buffer_gl0_inv
	v_mov_b32_e32 v41, 0xbb47
	ds_read2_b32 v[8:9], v0 offset1:40
	ds_read_b32 v23, v0 offset:1600
	v_add_nc_u32_e32 v6, 0x400, v0
	v_add_nc_u32_e32 v21, 0x200, v0
	ds_read2_b32 v[16:17], v0 offset0:80 offset1:120
	v_mov_b32_e32 v40, 0xba0c
	ds_read2_b32 v[10:11], v6 offset0:64 offset1:104
	ds_read2_b32 v[14:15], v0 offset0:160 offset1:200
	;; [unrolled: 1-line block ×3, first 2 shown]
	v_mov_b32_e32 v7, 0x3482
	v_mov_b32_e32 v36, 0x3beb
	s_mov_b32 s1, exec_lo
	s_waitcnt lgkmcnt(0)
	s_barrier
	buffer_gl0_inv
	v_pk_add_f16 v22, v9, v23 neg_lo:[0,1] neg_hi:[0,1]
	v_pk_add_f16 v25, v23, v9
	v_pk_add_f16 v28, v16, v11 neg_lo:[0,1] neg_hi:[0,1]
	v_mul_f16_sdwa v42, v22, v41 dst_sel:DWORD dst_unused:UNUSED_PAD src0_sel:WORD_1 src1_sel:DWORD
	v_pk_mul_f16 v18, 0x36a6b08e, v25
	v_lshrrev_b32_e32 v39, 16, v25
	v_mul_f16_e32 v53, 0xbbeb, v22
	v_pk_add_f16 v31, v11, v16
	v_pk_add_f16 v26, v17, v10 neg_lo:[0,1] neg_hi:[0,1]
	v_fmamk_f16 v19, v25, 0x36a6, v42
	v_mul_f16_sdwa v47, v28, v40 dst_sel:DWORD dst_unused:UNUSED_PAD src0_sel:WORD_1 src1_sel:DWORD
	v_pk_add_f16 v29, v10, v17
	v_pk_add_f16 v24, v14, v13 neg_lo:[0,1] neg_hi:[0,1]
	v_pk_fma_f16 v44, 0xbbebbb47, v22, v18 op_sel:[0,0,1] op_sel_hi:[1,1,0] neg_lo:[0,1,0] neg_hi:[0,1,0]
	v_pk_fma_f16 v46, 0xbbebbb47, v22, v18 op_sel:[0,0,1] op_sel_hi:[1,1,0]
	v_fma_f16 v18, v39, 0xb08e, -v53
	v_lshrrev_b32_e32 v34, 16, v31
	v_mul_f16_e32 v56, 0x3482, v28
	v_mul_f16_sdwa v43, v26, v7 dst_sel:DWORD dst_unused:UNUSED_PAD src0_sel:WORD_1 src1_sel:DWORD
	v_add_f16_e32 v19, v8, v19
	v_fmamk_f16 v30, v31, 0xb93d, v47
	v_pk_add_f16 v27, v13, v14
	v_pk_mul_f16 v20, 0xb93dbbad, v31
	v_pk_mul_f16 v7, 0xbbad36a6, v29
	v_lshrrev_b32_e32 v33, 16, v29
	v_mul_f16_e32 v55, 0x3b47, v26
	v_add_f16_sdwa v18, v8, v18 dst_sel:DWORD dst_unused:UNUSED_PAD src0_sel:WORD_1 src1_sel:DWORD
	v_fma_f16 v32, v34, 0xbbad, -v56
	v_fmamk_f16 v35, v29, 0xbbad, v43
	v_add_f16_e32 v19, v30, v19
	v_mul_f16_sdwa v45, v24, v36 dst_sel:DWORD dst_unused:UNUSED_PAD src0_sel:WORD_1 src1_sel:DWORD
	v_pk_fma_f16 v48, 0x3482ba0c, v28, v20 op_sel:[0,0,1] op_sel_hi:[1,1,0] neg_lo:[0,1,0] neg_hi:[0,1,0]
	v_pk_fma_f16 v49, 0x3482ba0c, v28, v20 op_sel:[0,0,1] op_sel_hi:[1,1,0]
	v_add_f16_e32 v18, v32, v18
	v_add_f16_e32 v19, v35, v19
	v_fma_f16 v20, v33, 0x36a6, -v55
	v_pk_fma_f16 v50, 0x3b473482, v26, v7 op_sel:[0,0,1] op_sel_hi:[1,1,0] neg_lo:[0,1,0] neg_hi:[0,1,0]
	v_pk_fma_f16 v51, 0x3b473482, v26, v7 op_sel:[0,0,1] op_sel_hi:[1,1,0]
	v_fmamk_f16 v7, v27, 0xb08e, v45
	v_lshrrev_b32_e32 v35, 16, v27
	v_mul_f16_e32 v58, 0xb853, v24
	v_add_f16_e32 v18, v20, v18
	v_pk_add_f16 v30, v15, v12 neg_lo:[0,1] neg_hi:[0,1]
	v_add_f16_e32 v7, v7, v19
	v_mov_b32_e32 v19, 0x3853
	v_fma_f16 v20, v35, 0x3abb, -v58
	v_add_f16_sdwa v38, v8, v44 dst_sel:DWORD dst_unused:UNUSED_PAD src0_sel:WORD_1 src1_sel:DWORD
	v_add_f16_sdwa v59, v8, v46 dst_sel:DWORD dst_unused:UNUSED_PAD src0_sel:DWORD src1_sel:WORD_1
	v_pk_mul_f16 v37, 0xb08e3abb, v27
	v_pk_add_f16 v32, v12, v15
	v_mul_f16_sdwa v54, v30, v19 dst_sel:DWORD dst_unused:UNUSED_PAD src0_sel:WORD_1 src1_sel:DWORD
	v_add_f16_e32 v19, v48, v38
	v_add_f16_e32 v20, v20, v18
	v_add_f16_sdwa v18, v49, v59 dst_sel:DWORD dst_unused:UNUSED_PAD src0_sel:WORD_1 src1_sel:DWORD
	v_pk_fma_f16 v52, 0xb8533beb, v24, v37 op_sel:[0,0,1] op_sel_hi:[1,1,0] neg_lo:[0,1,0] neg_hi:[0,1,0]
	v_pk_fma_f16 v57, 0xb8533beb, v24, v37 op_sel:[0,0,1] op_sel_hi:[1,1,0]
	v_pk_mul_f16 v60, 0x3abbb93d, v32
	v_add_f16_e32 v19, v50, v19
	v_lshrrev_b32_e32 v37, 16, v32
	v_add_f16_sdwa v18, v51, v18 dst_sel:DWORD dst_unused:UNUSED_PAD src0_sel:WORD_1 src1_sel:DWORD
	v_mul_f16_e32 v61, 0xba0c, v30
	v_fmamk_f16 v38, v32, 0x3abb, v54
	v_pk_fma_f16 v59, 0xba0c3853, v30, v60 op_sel:[0,0,1] op_sel_hi:[1,1,0] neg_lo:[0,1,0] neg_hi:[0,1,0]
	v_add_f16_e32 v19, v52, v19
	v_pk_fma_f16 v60, 0xba0c3853, v30, v60 op_sel:[0,0,1] op_sel_hi:[1,1,0]
	v_add_f16_sdwa v62, v57, v18 dst_sel:DWORD dst_unused:UNUSED_PAD src0_sel:WORD_1 src1_sel:DWORD
	v_fma_f16 v63, v37, 0xb93d, -v61
	v_add_f16_e32 v18, v38, v7
	v_add_f16_e32 v19, v59, v19
	v_add_f16_sdwa v7, v60, v62 dst_sel:DWORD dst_unused:UNUSED_PAD src0_sel:WORD_1 src1_sel:DWORD
	v_add_f16_e32 v20, v63, v20
	v_cmpx_gt_u32_e32 40, v5
	s_cbranch_execz .LBB0_15
; %bb.14:
	v_mul_f16_e32 v38, 0xb93d, v39
	v_mul_f16_sdwa v63, v22, v40 dst_sel:DWORD dst_unused:UNUSED_PAD src0_sel:WORD_1 src1_sel:DWORD
	v_mul_f16_e32 v62, 0xb08e, v34
	v_mul_f16_sdwa v64, v28, v36 dst_sel:DWORD dst_unused:UNUSED_PAD src0_sel:WORD_1 src1_sel:DWORD
	v_mul_f16_e32 v65, 0x3abb, v33
	v_fmamk_f16 v36, v22, 0x3a0c, v38
	v_fmamk_f16 v67, v25, 0xb93d, v63
	;; [unrolled: 1-line block ×5, first 2 shown]
	v_add_f16_sdwa v36, v8, v36 dst_sel:DWORD dst_unused:UNUSED_PAD src0_sel:WORD_1 src1_sel:DWORD
	v_add_f16_e32 v67, v8, v67
	v_fmac_f16_e32 v38, 0xba0c, v22
	v_mul_f16_e32 v75, 0x36a6, v37
	v_fmac_f16_e32 v62, 0x3beb, v28
	v_add_f16_e32 v36, v68, v36
	v_add_f16_e32 v67, v69, v67
	v_mul_f16_e32 v69, 0xbbad, v35
	v_add_f16_sdwa v38, v8, v38 dst_sel:DWORD dst_unused:UNUSED_PAD src0_sel:WORD_1 src1_sel:DWORD
	v_mov_b32_e32 v66, 0xb853
	v_add_f16_e32 v36, v72, v36
	v_fmac_f16_e32 v65, 0xb853, v26
	v_fmamk_f16 v72, v24, 0x3482, v69
	v_add_f16_e32 v62, v62, v38
	v_fma_f16 v63, v25, 0xb93d, -v63
	v_mul_f16_sdwa v70, v26, v66 dst_sel:DWORD dst_unused:UNUSED_PAD src0_sel:WORD_1 src1_sel:DWORD
	v_mov_b32_e32 v71, 0xb482
	v_add_f16_e32 v36, v72, v36
	v_fmamk_f16 v72, v30, 0xbb47, v75
	v_add_f16_e32 v62, v65, v62
	v_mul_f16_e32 v65, 0xbbad, v34
	v_add_f16_e32 v63, v8, v63
	v_fma_f16 v64, v31, 0xb08e, -v64
	v_add_f16_e32 v36, v72, v36
	v_mul_f16_e32 v72, 0xb08e, v39
	v_mul_f16_sdwa v73, v24, v71 dst_sel:DWORD dst_unused:UNUSED_PAD src0_sel:WORD_1 src1_sel:DWORD
	v_add_f16_e32 v56, v56, v65
	v_mul_f16_e32 v65, 0x36a6, v33
	v_add_f16_e32 v63, v64, v63
	v_add_f16_e32 v53, v53, v72
	v_fma_f16 v64, v29, 0x3abb, -v70
	v_bfi_b32 v44, 0xffff, v46, v44
	v_add_f16_e32 v55, v55, v65
	v_bfi_b32 v48, 0xffff, v49, v48
	v_add_f16_sdwa v53, v8, v53 dst_sel:DWORD dst_unused:UNUSED_PAD src0_sel:WORD_1 src1_sel:DWORD
	v_add_f16_e32 v63, v64, v63
	v_fma_f16 v64, v27, 0xbbad, -v73
	v_bfi_b32 v49, 0xffff, v51, v50
	v_mul_f16_e32 v50, 0xbb47, v28
	v_add_f16_e32 v53, v56, v53
	v_mul_f16_e32 v56, 0x3abb, v35
	v_bfi_b32 v52, 0xffff, v57, v52
	v_mul_f16_e32 v57, 0xbbeb, v26
	v_fmac_f16_e32 v69, 0xb482, v24
	v_add_f16_e32 v53, v55, v53
	v_add_f16_e32 v55, v58, v56
	v_mul_f16_e32 v56, 0xb93d, v37
	v_add_f16_e32 v58, v64, v63
	v_mul_f16_e32 v64, 0x36a6, v25
	v_mul_f16_e32 v51, 0x3abb, v32
	v_add_f16_e32 v53, v55, v53
	v_add_f16_e32 v55, v61, v56
	v_mul_f16_e32 v61, 0xb93d, v31
	v_sub_f16_e32 v42, v64, v42
	v_add_f16_e32 v62, v69, v62
	v_fmac_f16_e32 v75, 0x3b47, v30
	v_add_f16_e32 v53, v55, v53
	v_mul_f16_e32 v55, 0xbbad, v29
	v_add_f16_e32 v42, v8, v42
	v_sub_f16_e32 v46, v61, v47
	v_mul_f16_e32 v47, 0xb853, v22
	v_mul_f16_e32 v61, 0xb08e, v27
	v_sub_f16_e32 v43, v55, v43
	v_fmamk_f16 v55, v34, 0x36a6, v50
	v_add_f16_e32 v42, v46, v42
	v_fmamk_f16 v46, v39, 0x3abb, v47
	v_sub_f16_e32 v51, v51, v54
	v_mul_f16_sdwa v41, v28, v41 dst_sel:DWORD dst_unused:UNUSED_PAD src0_sel:WORD_1 src1_sel:DWORD
	v_pk_add_f16 v9, v8, v9
	v_add_f16_e32 v42, v43, v42
	v_add_f16_sdwa v46, v8, v46 dst_sel:DWORD dst_unused:UNUSED_PAD src0_sel:WORD_1 src1_sel:DWORD
	v_sub_f16_e32 v43, v61, v45
	v_bfi_b32 v45, 0xffff, v60, v59
	v_mul_f16_e32 v59, 0xba0c, v24
	v_mov_b32_e32 v61, 0xbbeb
	v_add_f16_e32 v46, v55, v46
	v_fmamk_f16 v55, v33, 0xb08e, v57
	v_add_f16_e32 v42, v43, v42
	v_mul_f16_sdwa v43, v22, v66 dst_sel:DWORD dst_unused:UNUSED_PAD src0_sel:WORD_1 src1_sel:DWORD
	v_fmamk_f16 v54, v35, 0xb93d, v59
	v_add_f16_e32 v56, v75, v62
	v_add_f16_e32 v46, v55, v46
	v_mul_f16_e32 v55, 0xb482, v30
	v_fma_f16 v60, v25, 0x3abb, -v43
	v_fma_f16 v62, v31, 0x36a6, -v41
	v_mul_f16_sdwa v61, v26, v61 dst_sel:DWORD dst_unused:UNUSED_PAD src0_sel:WORD_1 src1_sel:DWORD
	v_add_f16_e32 v46, v54, v46
	v_fmamk_f16 v54, v37, 0xbbad, v55
	v_add_f16_e32 v60, v8, v60
	v_pk_add_f16 v9, v9, v16
	v_add_f16_e32 v42, v51, v42
	v_mul_f16_sdwa v40, v24, v40 dst_sel:DWORD dst_unused:UNUSED_PAD src0_sel:WORD_1 src1_sel:DWORD
	v_add_f16_e32 v46, v54, v46
	v_add_f16_e32 v51, v62, v60
	v_fma_f16 v54, v29, 0xb08e, -v61
	v_fma_f16 v16, v39, 0x3abb, -v47
	v_pk_add_f16 v9, v9, v17
	v_fma_f16 v47, v27, 0xb93d, -v40
	v_fmac_f16_e32 v43, 0x3abb, v25
	v_add_f16_e32 v39, v54, v51
	v_add_f16_sdwa v16, v8, v16 dst_sel:DWORD dst_unused:UNUSED_PAD src0_sel:WORD_1 src1_sel:DWORD
	v_fma_f16 v17, v34, 0x36a6, -v50
	v_pk_add_f16 v9, v9, v14
	v_fmac_f16_e32 v41, 0x36a6, v31
	v_add_f16_e32 v34, v47, v39
	v_add_f16_e32 v39, v8, v43
	;; [unrolled: 1-line block ×3, first 2 shown]
	v_fma_f16 v16, v33, 0xb08e, -v57
	v_pk_add_f16 v9, v9, v15
	v_fmac_f16_e32 v61, 0xb08e, v29
	v_add_f16_e32 v15, v41, v39
	v_mul_f16_sdwa v17, v30, v71 dst_sel:DWORD dst_unused:UNUSED_PAD src0_sel:WORD_1 src1_sel:DWORD
	v_add_f16_e32 v14, v16, v14
	v_fma_f16 v16, v35, 0xb93d, -v59
	v_pk_add_f16 v9, v9, v12
	v_add_f16_e32 v15, v61, v15
	v_fmac_f16_e32 v40, 0xb93d, v27
	v_fma_f16 v12, v32, 0xbbad, -v17
	v_add_f16_e32 v14, v16, v14
	v_pk_add_f16 v9, v9, v13
	v_fma_f16 v13, v37, 0xbbad, -v55
	v_add_f16_e32 v15, v40, v15
	v_fmac_f16_e32 v17, 0xbbad, v32
	v_alignbit_b32 v60, s0, v8, 16
	v_pk_add_f16 v9, v9, v10
	v_add_f16_e32 v10, v13, v14
	v_pk_mul_f16 v14, 0xbbad, v25 op_sel_hi:[0,1]
	v_add_f16_e32 v15, v17, v15
	v_pk_mul_f16 v17, 0x3abb, v31 op_sel_hi:[0,1]
	v_pk_add_f16 v9, v9, v11
	v_fmamk_f16 v68, v29, 0x3abb, v70
	v_pk_fma_f16 v16, 0xb482, v22, v14 op_sel:[0,0,1] op_sel_hi:[0,1,0] neg_lo:[0,1,0] neg_hi:[0,1,0]
	v_pk_mul_f16 v29, 0xb93d, v29 op_sel_hi:[0,1]
	v_pk_fma_f16 v25, 0x3853, v28, v17 op_sel:[0,0,1] op_sel_hi:[0,1,0] neg_lo:[0,1,0] neg_hi:[0,1,0]
	v_pk_add_f16 v9, v9, v23
	v_pk_fma_f16 v14, 0xb482, v22, v14 op_sel:[0,0,1] op_sel_hi:[0,1,0]
	v_pk_add_f16 v23, v60, v16
	v_alignbit_b32 v16, s0, v16, 16
	v_pk_add_f16 v13, v8, v44 op_sel:[1,0] op_sel_hi:[0,1]
	v_pk_fma_f16 v17, 0x3853, v28, v17 op_sel:[0,0,1] op_sel_hi:[0,1,0]
	v_pk_add_f16 v14, v8, v14 op_sel:[1,0] op_sel_hi:[0,1]
	v_pk_add_f16 v22, v25, v23
	v_pk_fma_f16 v23, 0xba0c, v26, v29 op_sel:[0,0,1] op_sel_hi:[0,1,0] neg_lo:[0,1,0] neg_hi:[0,1,0]
	v_pk_add_f16 v8, v8, v16
	v_alignbit_b32 v16, s0, v25, 16
	v_pk_mul_f16 v25, 0x36a6, v27 op_sel_hi:[0,1]
	v_pk_add_f16 v13, v48, v13
	v_add_f16_e32 v67, v68, v67
	v_mov_b32_e32 v68, 0x3b47
	v_pk_add_f16 v22, v23, v22
	v_pk_add_f16 v14, v17, v14
	v_pk_fma_f16 v17, 0xba0c, v26, v29 op_sel:[0,0,1] op_sel_hi:[0,1,0]
	v_pk_add_f16 v8, v16, v8
	v_alignbit_b32 v16, s0, v23, 16
	v_pk_fma_f16 v23, 0x3b47, v24, v25 op_sel:[0,0,1] op_sel_hi:[0,1,0] neg_lo:[0,1,0] neg_hi:[0,1,0]
	v_pk_mul_f16 v26, 0xb08e, v32 op_sel_hi:[0,1]
	v_pk_add_f16 v13, v49, v13
	v_mul_f16_sdwa v68, v30, v68 dst_sel:DWORD dst_unused:UNUSED_PAD src0_sel:WORD_1 src1_sel:DWORD
	v_add_f16_e32 v12, v12, v34
	v_pk_add_f16 v14, v17, v14
	v_pk_fma_f16 v17, 0x3b47, v24, v25 op_sel:[0,0,1] op_sel_hi:[0,1,0]
	v_pk_add_f16 v8, v16, v8
	v_alignbit_b32 v16, s0, v23, 16
	v_pk_fma_f16 v24, 0xbbeb, v30, v26 op_sel:[0,0,1] op_sel_hi:[0,1,0] neg_lo:[0,1,0] neg_hi:[0,1,0]
	v_fmamk_f16 v74, v27, 0xbbad, v73
	v_pk_add_f16 v13, v52, v13
	v_fma_f16 v63, v32, 0x36a6, -v68
	v_mad_u32_u24 v11, v5, 40, v0
	v_pack_b32_f16 v12, v12, v46
	v_pk_add_f16 v22, v23, v22
	v_pk_add_f16 v14, v17, v14
	v_pk_fma_f16 v17, 0xbbeb, v30, v26 op_sel:[0,0,1] op_sel_hi:[0,1,0]
	v_pk_add_f16 v8, v16, v8
	v_alignbit_b32 v16, s0, v24, 16
	v_add_f16_e32 v67, v74, v67
	v_fmamk_f16 v74, v32, 0x36a6, v68
	v_pk_add_f16 v13, v45, v13
	v_add_f16_e32 v58, v63, v58
	ds_write2_b32 v11, v9, v12 offset1:1
	v_pk_add_f16 v9, v24, v22
	v_pk_add_f16 v12, v17, v14
	;; [unrolled: 1-line block ×3, first 2 shown]
	v_add_f16_e32 v38, v74, v67
	v_alignbit_b32 v14, v53, v13, 16
	v_pack_b32_f16 v13, v42, v13
	v_pack_b32_f16 v16, v58, v56
	v_alignbit_b32 v9, v9, v12, 16
	v_pack_b32_f16 v8, v8, v12
	v_pack_b32_f16 v12, v38, v36
	v_perm_b32 v17, v20, v7, 0x5040100
	v_pack_b32_f16 v10, v15, v10
	v_perm_b32 v15, v19, v18, 0x5040100
	ds_write2_b32 v11, v13, v14 offset0:2 offset1:3
	ds_write_b32 v11, v16 offset:16
	ds_write2_b32 v11, v8, v9 offset0:5 offset1:6
	ds_write2_b32 v11, v12, v17 offset0:7 offset1:8
	ds_write2_b32 v11, v15, v10 offset0:9 offset1:10
.LBB0_15:
	s_or_b32 exec_lo, exec_lo, s1
	v_and_b32_e32 v8, 0xff, v5
	s_load_dwordx2 s[2:3], s[2:3], 0x0
	s_waitcnt lgkmcnt(0)
	s_barrier
	buffer_gl0_inv
	v_mul_lo_u16 v8, 0x75, v8
	v_mov_b32_e32 v29, 2
	v_cmp_gt_u32_e64 s0, 33, v5
	v_lshrrev_b16 v8, 8, v8
	v_sub_nc_u16 v9, v5, v8
	v_lshrrev_b16 v9, 1, v9
	v_and_b32_e32 v9, 0x7f, v9
	v_add_nc_u16 v8, v9, v8
	v_mov_b32_e32 v9, 7
	v_lshrrev_b16 v17, 3, v8
	v_mul_lo_u16 v8, v17, 11
	v_sub_nc_u16 v28, v5, v8
	v_mul_u32_u24_sdwa v8, v28, v9 dst_sel:DWORD dst_unused:UNUSED_PAD src0_sel:BYTE_0 src1_sel:DWORD
	v_lshlrev_b32_e32 v12, 2, v8
	s_clause 0x1
	global_load_dwordx4 v[8:11], v12, s[12:13]
	global_load_dwordx3 v[12:14], v12, s[12:13] offset:16
	ds_read2_b32 v[15:16], v6 offset0:74 offset1:129
	ds_read2_b32 v[22:23], v0 offset1:55
	ds_read2_b32 v[24:25], v0 offset0:110 offset1:165
	ds_read2_b32 v[26:27], v21 offset0:92 offset1:147
	v_mov_b32_e32 v6, 0x160
	s_waitcnt vmcnt(0) lgkmcnt(0)
	s_barrier
	buffer_gl0_inv
	v_mul_u32_u24_sdwa v6, v17, v6 dst_sel:DWORD dst_unused:UNUSED_PAD src0_sel:WORD_0 src1_sel:DWORD
	v_lshlrev_b32_sdwa v17, v29, v28 dst_sel:DWORD dst_unused:UNUSED_PAD src0_sel:DWORD src1_sel:BYTE_0
	v_add3_u32 v36, 0, v6, v17
	v_lshrrev_b32_e32 v30, 16, v16
	v_lshrrev_b32_e32 v31, 16, v23
	;; [unrolled: 1-line block ×8, first 2 shown]
	v_mul_f16_sdwa v6, v8, v31 dst_sel:DWORD dst_unused:UNUSED_PAD src0_sel:WORD_1 src1_sel:DWORD
	v_mul_f16_sdwa v17, v8, v23 dst_sel:DWORD dst_unused:UNUSED_PAD src0_sel:WORD_1 src1_sel:DWORD
	;; [unrolled: 1-line block ×12, first 2 shown]
	v_mul_f16_sdwa v47, v30, v14 dst_sel:DWORD dst_unused:UNUSED_PAD src0_sel:DWORD src1_sel:WORD_1
	v_mul_f16_sdwa v48, v16, v14 dst_sel:DWORD dst_unused:UNUSED_PAD src0_sel:DWORD src1_sel:WORD_1
	v_fma_f16 v6, v8, v23, -v6
	v_fmac_f16_e32 v17, v8, v31
	v_fma_f16 v8, v9, v24, -v37
	v_fmac_f16_e32 v38, v9, v32
	;; [unrolled: 2-line block ×7, first 2 shown]
	v_sub_f16_e32 v10, v22, v10
	v_sub_f16_e32 v14, v35, v42
	;; [unrolled: 1-line block ×8, first 2 shown]
	v_fma_f16 v22, v22, 2.0, -v10
	v_fma_f16 v24, v35, 2.0, -v14
	;; [unrolled: 1-line block ×8, first 2 shown]
	v_sub_f16_e32 v15, v10, v15
	v_add_f16_e32 v12, v14, v12
	v_sub_f16_e32 v23, v11, v23
	v_add_f16_e32 v13, v16, v13
	v_sub_f16_e32 v28, v22, v8
	v_sub_f16_e32 v25, v24, v25
	v_fma_f16 v10, v10, 2.0, -v15
	v_fma_f16 v14, v14, 2.0, -v12
	v_sub_f16_e32 v29, v26, v6
	v_sub_f16_e32 v9, v27, v9
	v_fma_f16 v11, v11, 2.0, -v23
	v_fma_f16 v30, v16, 2.0, -v13
	v_fmamk_f16 v6, v23, 0x39a8, v15
	v_fmamk_f16 v17, v13, 0x39a8, v12
	v_fma_f16 v31, v22, 2.0, -v28
	v_fma_f16 v24, v24, 2.0, -v25
	;; [unrolled: 1-line block ×4, first 2 shown]
	v_fmamk_f16 v8, v11, 0xb9a8, v10
	v_fmamk_f16 v16, v30, 0xb9a8, v14
	v_sub_f16_e32 v9, v28, v9
	v_add_f16_e32 v22, v25, v29
	v_fmac_f16_e32 v6, 0xb9a8, v13
	v_fmac_f16_e32 v17, 0x39a8, v23
	v_sub_f16_e32 v13, v31, v26
	v_sub_f16_e32 v23, v24, v27
	v_fmac_f16_e32 v8, 0xb9a8, v30
	v_fmac_f16_e32 v16, 0x39a8, v11
	v_fma_f16 v11, v28, 2.0, -v9
	v_fma_f16 v25, v25, 2.0, -v22
	;; [unrolled: 1-line block ×8, first 2 shown]
	v_pack_b32_f16 v26, v9, v22
	v_pack_b32_f16 v27, v6, v17
	;; [unrolled: 1-line block ×8, first 2 shown]
	ds_write2_b32 v36, v26, v27 offset0:66 offset1:77
	ds_write2_b32 v36, v11, v12 offset0:22 offset1:33
	;; [unrolled: 1-line block ×3, first 2 shown]
	ds_write2_b32 v36, v23, v10 offset1:11
	s_waitcnt lgkmcnt(0)
	s_barrier
	buffer_gl0_inv
	ds_read2_b32 v[10:11], v0 offset1:88
	ds_read2_b32 v[14:15], v21 offset0:48 offset1:136
	ds_read_b32 v23, v0 offset:1408
	s_and_saveexec_b32 s1, s0
	s_cbranch_execz .LBB0_17
; %bb.16:
	v_add_nc_u32_e32 v6, 0x200, v0
	ds_read2_b32 v[8:9], v0 offset0:55 offset1:143
	ds_read_b32 v18, v0 offset:1628
	ds_read2_b32 v[6:7], v6 offset0:103 offset1:191
	s_waitcnt lgkmcnt(2)
	v_lshrrev_b32_e32 v16, 16, v8
	s_waitcnt lgkmcnt(1)
	v_lshrrev_b32_e32 v19, 16, v18
	v_lshrrev_b32_e32 v22, 16, v9
	s_waitcnt lgkmcnt(0)
	v_lshrrev_b32_e32 v17, 16, v6
	v_lshrrev_b32_e32 v20, 16, v7
.LBB0_17:
	s_or_b32 exec_lo, exec_lo, s1
	v_lshlrev_b32_e32 v12, 2, v5
	v_mov_b32_e32 v13, 0
	s_waitcnt lgkmcnt(0)
	v_lshrrev_b32_e32 v28, 16, v23
	v_lshrrev_b32_e32 v29, 16, v11
	v_lshrrev_b32_e32 v30, 16, v15
	v_lshrrev_b32_e32 v31, 16, v14
	v_lshlrev_b64 v[24:25], 2, v[12:13]
	v_lshrrev_b32_e32 v12, 16, v10
	v_add_nc_u32_e32 v21, 0x200, v0
	v_add_co_u32 v24, s1, s12, v24
	v_add_co_ci_u32_e64 v25, s1, s13, v25, s1
	global_load_dwordx4 v[24:27], v[24:25], off offset:308
	s_waitcnt vmcnt(0)
	s_barrier
	buffer_gl0_inv
	v_mul_f16_sdwa v32, v24, v29 dst_sel:DWORD dst_unused:UNUSED_PAD src0_sel:WORD_1 src1_sel:DWORD
	v_mul_f16_sdwa v34, v25, v31 dst_sel:DWORD dst_unused:UNUSED_PAD src0_sel:WORD_1 src1_sel:DWORD
	;; [unrolled: 1-line block ×8, first 2 shown]
	v_fma_f16 v11, v24, v11, -v32
	v_fma_f16 v14, v25, v14, -v34
	v_fmac_f16_e32 v35, v25, v31
	v_fma_f16 v15, v26, v15, -v36
	v_fmac_f16_e32 v37, v26, v30
	;; [unrolled: 2-line block ×3, first 2 shown]
	v_fmac_f16_e32 v39, v27, v28
	v_add_f16_e32 v24, v10, v11
	v_add_f16_e32 v25, v14, v15
	;; [unrolled: 1-line block ×5, first 2 shown]
	v_sub_f16_e32 v26, v33, v39
	v_sub_f16_e32 v28, v11, v14
	;; [unrolled: 1-line block ×4, first 2 shown]
	v_add_f16_e32 v34, v12, v33
	v_sub_f16_e32 v11, v11, v23
	v_sub_f16_e32 v38, v14, v15
	v_add_f16_e32 v14, v24, v14
	v_fma_f16 v24, -0.5, v25, v10
	v_fmac_f16_e32 v10, -0.5, v30
	v_fma_f16 v30, -0.5, v36, v12
	v_sub_f16_e32 v27, v35, v37
	v_sub_f16_e32 v32, v15, v23
	;; [unrolled: 1-line block ×5, first 2 shown]
	v_fmac_f16_e32 v12, -0.5, v42
	v_sub_f16_e32 v41, v39, v37
	v_add_f16_e32 v25, v28, v29
	v_add_f16_e32 v29, v34, v35
	;; [unrolled: 1-line block ×3, first 2 shown]
	v_fmamk_f16 v15, v26, 0x3b9c, v24
	v_fmamk_f16 v34, v11, 0xbb9c, v30
	v_add_f16_e32 v28, v31, v32
	v_add_f16_e32 v32, v33, v43
	v_fmamk_f16 v33, v27, 0xbb9c, v10
	v_fmac_f16_e32 v10, 0x3b9c, v27
	v_fmamk_f16 v35, v38, 0x3b9c, v12
	v_fmac_f16_e32 v12, 0xbb9c, v38
	v_fmac_f16_e32 v24, 0xbb9c, v26
	;; [unrolled: 1-line block ×3, first 2 shown]
	v_add_f16_e32 v31, v40, v41
	v_add_f16_e32 v29, v29, v37
	v_fmac_f16_e32 v15, 0x38b4, v27
	v_fmac_f16_e32 v34, 0xb8b4, v38
	;; [unrolled: 1-line block ×8, first 2 shown]
	v_add_f16_e32 v14, v14, v23
	v_add_f16_e32 v23, v29, v39
	v_fmac_f16_e32 v15, 0x34f2, v25
	v_fmac_f16_e32 v34, 0x34f2, v31
	v_fmac_f16_e32 v33, 0x34f2, v28
	v_fmac_f16_e32 v10, 0x34f2, v28
	v_fmac_f16_e32 v35, 0x34f2, v32
	v_fmac_f16_e32 v12, 0x34f2, v32
	v_fmac_f16_e32 v24, 0x34f2, v25
	v_fmac_f16_e32 v30, 0x34f2, v31
	v_pack_b32_f16 v11, v14, v23
	v_pack_b32_f16 v14, v15, v34
	v_pack_b32_f16 v15, v33, v35
	v_pack_b32_f16 v10, v10, v12
	v_pack_b32_f16 v12, v24, v30
	ds_write2_b32 v0, v11, v14 offset1:88
	ds_write2_b32 v21, v15, v10 offset0:48 offset1:136
	ds_write_b32 v0, v12 offset:1408
	s_and_saveexec_b32 s1, s0
	s_cbranch_execz .LBB0_19
; %bb.18:
	v_cndmask_b32_e64 v10, 0xffffffdf, 55, s0
	v_add_lshl_u32 v12, v5, v10, 2
	v_lshlrev_b64 v[10:11], 2, v[12:13]
	v_add_co_u32 v10, s0, s12, v10
	v_add_co_ci_u32_e64 v11, s0, s13, v11, s0
	global_load_dwordx4 v[10:13], v[10:11], off offset:308
	s_waitcnt vmcnt(0)
	v_mul_f16_sdwa v14, v6, v11 dst_sel:DWORD dst_unused:UNUSED_PAD src0_sel:DWORD src1_sel:WORD_1
	v_mul_f16_sdwa v15, v9, v10 dst_sel:DWORD dst_unused:UNUSED_PAD src0_sel:DWORD src1_sel:WORD_1
	;; [unrolled: 1-line block ×8, first 2 shown]
	v_fmac_f16_e32 v14, v17, v11
	v_fmac_f16_e32 v15, v22, v10
	;; [unrolled: 1-line block ×4, first 2 shown]
	v_fma_f16 v6, v6, v11, -v25
	v_fma_f16 v7, v7, v12, -v26
	;; [unrolled: 1-line block ×4, first 2 shown]
	v_sub_f16_e32 v11, v14, v15
	v_sub_f16_e32 v12, v23, v24
	v_add_f16_e32 v17, v15, v24
	v_sub_f16_e32 v19, v6, v9
	v_sub_f16_e32 v20, v7, v10
	v_add_f16_e32 v25, v9, v10
	v_add_f16_e32 v29, v14, v23
	v_add_f16_e32 v32, v6, v7
	v_sub_f16_e32 v18, v9, v10
	v_sub_f16_e32 v22, v15, v24
	;; [unrolled: 1-line block ×5, first 2 shown]
	v_add_f16_e32 v15, v16, v15
	v_add_f16_e32 v9, v8, v9
	;; [unrolled: 1-line block ×3, first 2 shown]
	v_fma_f16 v12, -0.5, v17, v16
	v_add_f16_e32 v17, v19, v20
	v_fma_f16 v19, -0.5, v25, v8
	v_fma_f16 v16, -0.5, v29, v16
	;; [unrolled: 1-line block ×3, first 2 shown]
	v_sub_f16_e32 v13, v6, v7
	v_sub_f16_e32 v26, v14, v23
	;; [unrolled: 1-line block ×3, first 2 shown]
	v_add_f16_e32 v20, v27, v28
	v_add_f16_e32 v14, v15, v14
	v_add_f16_e32 v6, v9, v6
	v_fmamk_f16 v27, v18, 0xbb9c, v16
	v_fmamk_f16 v28, v22, 0x3b9c, v8
	;; [unrolled: 1-line block ×4, first 2 shown]
	v_fmac_f16_e32 v12, 0xbb9c, v13
	v_fmac_f16_e32 v19, 0x3b9c, v26
	;; [unrolled: 1-line block ×4, first 2 shown]
	v_add_f16_e32 v25, v30, v31
	v_add_f16_e32 v14, v14, v23
	;; [unrolled: 1-line block ×3, first 2 shown]
	v_fmac_f16_e32 v27, 0xb8b4, v13
	v_fmac_f16_e32 v28, 0x38b4, v26
	;; [unrolled: 1-line block ×8, first 2 shown]
	v_add_f16_e32 v7, v14, v24
	v_add_f16_e32 v6, v6, v10
	v_fmac_f16_e32 v27, 0x34f2, v20
	v_fmac_f16_e32 v28, 0x34f2, v25
	;; [unrolled: 1-line block ×8, first 2 shown]
	v_pack_b32_f16 v6, v6, v7
	v_pack_b32_f16 v7, v28, v27
	;; [unrolled: 1-line block ×5, first 2 shown]
	ds_write2_b32 v0, v6, v7 offset0:55 offset1:143
	ds_write2_b32 v21, v9, v10 offset0:103 offset1:191
	ds_write_b32 v0, v8 offset:1628
.LBB0_19:
	s_or_b32 exec_lo, exec_lo, s1
	s_waitcnt lgkmcnt(0)
	s_barrier
	buffer_gl0_inv
	s_and_saveexec_b32 s0, vcc_lo
	s_cbranch_execz .LBB0_21
; %bb.20:
	v_mul_lo_u32 v0, s3, v3
	v_mul_lo_u32 v7, s2, v4
	v_mad_u64_u32 v[3:4], null, s2, v3, 0
	v_lshl_add_u32 v17, v5, 2, 0
	v_mov_b32_e32 v6, 0
	ds_read2_b32 v[9:10], v17 offset1:55
	v_add3_u32 v4, v4, v7, v0
	v_lshlrev_b64 v[0:1], 2, v[1:2]
	v_add_nc_u32_e32 v2, 55, v5
	ds_read2_b32 v[15:16], v17 offset0:110 offset1:165
	v_lshlrev_b64 v[13:14], 2, v[5:6]
	v_lshlrev_b64 v[11:12], 2, v[3:4]
	v_mov_b32_e32 v3, v6
	v_add_nc_u32_e32 v7, 0x6e, v5
	v_mov_b32_e32 v8, v6
	v_add_co_u32 v4, vcc_lo, s10, v11
	v_add_co_ci_u32_e32 v11, vcc_lo, s11, v12, vcc_lo
	v_lshlrev_b64 v[2:3], 2, v[2:3]
	v_add_co_u32 v18, vcc_lo, v4, v0
	v_add_co_ci_u32_e32 v19, vcc_lo, v11, v1, vcc_lo
	v_lshlrev_b64 v[0:1], 2, v[7:8]
	v_add_co_u32 v7, vcc_lo, v18, v13
	v_add_co_ci_u32_e32 v8, vcc_lo, v19, v14, vcc_lo
	v_add_co_u32 v2, vcc_lo, v18, v2
	v_add_co_ci_u32_e32 v3, vcc_lo, v19, v3, vcc_lo
	v_add_co_u32 v0, vcc_lo, v18, v0
	v_add_nc_u32_e32 v4, 0x200, v17
	v_add_co_ci_u32_e32 v1, vcc_lo, v19, v1, vcc_lo
	v_add_nc_u32_e32 v11, 0xa5, v5
	v_mov_b32_e32 v12, v6
	s_waitcnt lgkmcnt(1)
	global_store_dword v[7:8], v9, off
	global_store_dword v[2:3], v10, off
	s_waitcnt lgkmcnt(0)
	global_store_dword v[0:1], v15, off
	v_add_nc_u32_e32 v2, 0xdc, v5
	v_mov_b32_e32 v3, v6
	ds_read2_b32 v[9:10], v4 offset0:92 offset1:147
	v_add_nc_u32_e32 v4, 0x400, v17
	v_lshlrev_b64 v[0:1], 2, v[11:12]
	v_add_nc_u32_e32 v7, 0x113, v5
	v_mov_b32_e32 v8, v6
	v_lshlrev_b64 v[2:3], 2, v[2:3]
	v_add_nc_u32_e32 v11, 0x14a, v5
	ds_read2_b32 v[13:14], v4 offset0:74 offset1:129
	v_add_co_u32 v0, vcc_lo, v18, v0
	v_lshlrev_b64 v[7:8], 2, v[7:8]
	v_add_nc_u32_e32 v5, 0x181, v5
	v_add_co_ci_u32_e32 v1, vcc_lo, v19, v1, vcc_lo
	v_add_co_u32 v2, vcc_lo, v18, v2
	v_lshlrev_b64 v[11:12], 2, v[11:12]
	v_add_co_ci_u32_e32 v3, vcc_lo, v19, v3, vcc_lo
	v_add_co_u32 v7, vcc_lo, v18, v7
	v_lshlrev_b64 v[4:5], 2, v[5:6]
	v_add_co_ci_u32_e32 v8, vcc_lo, v19, v8, vcc_lo
	v_add_co_u32 v11, vcc_lo, v18, v11
	v_add_co_ci_u32_e32 v12, vcc_lo, v19, v12, vcc_lo
	v_add_co_u32 v4, vcc_lo, v18, v4
	v_add_co_ci_u32_e32 v5, vcc_lo, v19, v5, vcc_lo
	global_store_dword v[0:1], v16, off
	s_waitcnt lgkmcnt(1)
	global_store_dword v[2:3], v9, off
	global_store_dword v[7:8], v10, off
	s_waitcnt lgkmcnt(0)
	global_store_dword v[11:12], v13, off
	global_store_dword v[4:5], v14, off
.LBB0_21:
	s_endpgm
	.section	.rodata,"a",@progbits
	.p2align	6, 0x0
	.amdhsa_kernel fft_rtc_fwd_len440_factors_11_8_5_wgs_55_tpt_55_half_op_CI_CI_unitstride_sbrr_dirReg
		.amdhsa_group_segment_fixed_size 0
		.amdhsa_private_segment_fixed_size 0
		.amdhsa_kernarg_size 104
		.amdhsa_user_sgpr_count 6
		.amdhsa_user_sgpr_private_segment_buffer 1
		.amdhsa_user_sgpr_dispatch_ptr 0
		.amdhsa_user_sgpr_queue_ptr 0
		.amdhsa_user_sgpr_kernarg_segment_ptr 1
		.amdhsa_user_sgpr_dispatch_id 0
		.amdhsa_user_sgpr_flat_scratch_init 0
		.amdhsa_user_sgpr_private_segment_size 0
		.amdhsa_wavefront_size32 1
		.amdhsa_uses_dynamic_stack 0
		.amdhsa_system_sgpr_private_segment_wavefront_offset 0
		.amdhsa_system_sgpr_workgroup_id_x 1
		.amdhsa_system_sgpr_workgroup_id_y 0
		.amdhsa_system_sgpr_workgroup_id_z 0
		.amdhsa_system_sgpr_workgroup_info 0
		.amdhsa_system_vgpr_workitem_id 0
		.amdhsa_next_free_vgpr 76
		.amdhsa_next_free_sgpr 27
		.amdhsa_reserve_vcc 1
		.amdhsa_reserve_flat_scratch 0
		.amdhsa_float_round_mode_32 0
		.amdhsa_float_round_mode_16_64 0
		.amdhsa_float_denorm_mode_32 3
		.amdhsa_float_denorm_mode_16_64 3
		.amdhsa_dx10_clamp 1
		.amdhsa_ieee_mode 1
		.amdhsa_fp16_overflow 0
		.amdhsa_workgroup_processor_mode 1
		.amdhsa_memory_ordered 1
		.amdhsa_forward_progress 0
		.amdhsa_shared_vgpr_count 0
		.amdhsa_exception_fp_ieee_invalid_op 0
		.amdhsa_exception_fp_denorm_src 0
		.amdhsa_exception_fp_ieee_div_zero 0
		.amdhsa_exception_fp_ieee_overflow 0
		.amdhsa_exception_fp_ieee_underflow 0
		.amdhsa_exception_fp_ieee_inexact 0
		.amdhsa_exception_int_div_zero 0
	.end_amdhsa_kernel
	.text
.Lfunc_end0:
	.size	fft_rtc_fwd_len440_factors_11_8_5_wgs_55_tpt_55_half_op_CI_CI_unitstride_sbrr_dirReg, .Lfunc_end0-fft_rtc_fwd_len440_factors_11_8_5_wgs_55_tpt_55_half_op_CI_CI_unitstride_sbrr_dirReg
                                        ; -- End function
	.section	.AMDGPU.csdata,"",@progbits
; Kernel info:
; codeLenInByte = 6420
; NumSgprs: 29
; NumVgprs: 76
; ScratchSize: 0
; MemoryBound: 0
; FloatMode: 240
; IeeeMode: 1
; LDSByteSize: 0 bytes/workgroup (compile time only)
; SGPRBlocks: 3
; VGPRBlocks: 9
; NumSGPRsForWavesPerEU: 29
; NumVGPRsForWavesPerEU: 76
; Occupancy: 12
; WaveLimiterHint : 1
; COMPUTE_PGM_RSRC2:SCRATCH_EN: 0
; COMPUTE_PGM_RSRC2:USER_SGPR: 6
; COMPUTE_PGM_RSRC2:TRAP_HANDLER: 0
; COMPUTE_PGM_RSRC2:TGID_X_EN: 1
; COMPUTE_PGM_RSRC2:TGID_Y_EN: 0
; COMPUTE_PGM_RSRC2:TGID_Z_EN: 0
; COMPUTE_PGM_RSRC2:TIDIG_COMP_CNT: 0
	.text
	.p2alignl 6, 3214868480
	.fill 48, 4, 3214868480
	.type	__hip_cuid_a3c67bbe8900793b,@object ; @__hip_cuid_a3c67bbe8900793b
	.section	.bss,"aw",@nobits
	.globl	__hip_cuid_a3c67bbe8900793b
__hip_cuid_a3c67bbe8900793b:
	.byte	0                               ; 0x0
	.size	__hip_cuid_a3c67bbe8900793b, 1

	.ident	"AMD clang version 19.0.0git (https://github.com/RadeonOpenCompute/llvm-project roc-6.4.0 25133 c7fe45cf4b819c5991fe208aaa96edf142730f1d)"
	.section	".note.GNU-stack","",@progbits
	.addrsig
	.addrsig_sym __hip_cuid_a3c67bbe8900793b
	.amdgpu_metadata
---
amdhsa.kernels:
  - .args:
      - .actual_access:  read_only
        .address_space:  global
        .offset:         0
        .size:           8
        .value_kind:     global_buffer
      - .offset:         8
        .size:           8
        .value_kind:     by_value
      - .actual_access:  read_only
        .address_space:  global
        .offset:         16
        .size:           8
        .value_kind:     global_buffer
      - .actual_access:  read_only
        .address_space:  global
        .offset:         24
        .size:           8
        .value_kind:     global_buffer
      - .actual_access:  read_only
        .address_space:  global
        .offset:         32
        .size:           8
        .value_kind:     global_buffer
      - .offset:         40
        .size:           8
        .value_kind:     by_value
      - .actual_access:  read_only
        .address_space:  global
        .offset:         48
        .size:           8
        .value_kind:     global_buffer
      - .actual_access:  read_only
        .address_space:  global
        .offset:         56
        .size:           8
        .value_kind:     global_buffer
      - .offset:         64
        .size:           4
        .value_kind:     by_value
      - .actual_access:  read_only
        .address_space:  global
        .offset:         72
        .size:           8
        .value_kind:     global_buffer
      - .actual_access:  read_only
        .address_space:  global
        .offset:         80
        .size:           8
        .value_kind:     global_buffer
      - .actual_access:  read_only
        .address_space:  global
        .offset:         88
        .size:           8
        .value_kind:     global_buffer
      - .actual_access:  write_only
        .address_space:  global
        .offset:         96
        .size:           8
        .value_kind:     global_buffer
    .group_segment_fixed_size: 0
    .kernarg_segment_align: 8
    .kernarg_segment_size: 104
    .language:       OpenCL C
    .language_version:
      - 2
      - 0
    .max_flat_workgroup_size: 55
    .name:           fft_rtc_fwd_len440_factors_11_8_5_wgs_55_tpt_55_half_op_CI_CI_unitstride_sbrr_dirReg
    .private_segment_fixed_size: 0
    .sgpr_count:     29
    .sgpr_spill_count: 0
    .symbol:         fft_rtc_fwd_len440_factors_11_8_5_wgs_55_tpt_55_half_op_CI_CI_unitstride_sbrr_dirReg.kd
    .uniform_work_group_size: 1
    .uses_dynamic_stack: false
    .vgpr_count:     76
    .vgpr_spill_count: 0
    .wavefront_size: 32
    .workgroup_processor_mode: 1
amdhsa.target:   amdgcn-amd-amdhsa--gfx1030
amdhsa.version:
  - 1
  - 2
...

	.end_amdgpu_metadata
